;; amdgpu-corpus repo=ROCm/rocFFT kind=compiled arch=gfx1201 opt=O3
	.text
	.amdgcn_target "amdgcn-amd-amdhsa--gfx1201"
	.amdhsa_code_object_version 6
	.protected	bluestein_single_back_len420_dim1_sp_op_CI_CI ; -- Begin function bluestein_single_back_len420_dim1_sp_op_CI_CI
	.globl	bluestein_single_back_len420_dim1_sp_op_CI_CI
	.p2align	8
	.type	bluestein_single_back_len420_dim1_sp_op_CI_CI,@function
bluestein_single_back_len420_dim1_sp_op_CI_CI: ; @bluestein_single_back_len420_dim1_sp_op_CI_CI
; %bb.0:
	s_load_b128 s[4:7], s[0:1], 0x28
	v_mul_u32_u24_e32 v1, 0x445, v0
	s_mov_b32 s2, exec_lo
	v_mov_b32_e32 v59, 0
	s_delay_alu instid0(VALU_DEP_2) | instskip(NEXT) | instid1(VALU_DEP_1)
	v_lshrrev_b32_e32 v1, 16, v1
	v_add_nc_u32_e32 v58, ttmp9, v1
	s_wait_kmcnt 0x0
	s_delay_alu instid0(VALU_DEP_1)
	v_cmpx_gt_u64_e64 s[4:5], v[58:59]
	s_cbranch_execz .LBB0_23
; %bb.1:
	s_clause 0x1
	s_load_b64 s[10:11], s[0:1], 0x0
	s_load_b64 s[8:9], s[0:1], 0x38
	v_mul_lo_u16 v1, v1, 60
	s_delay_alu instid0(VALU_DEP_1) | instskip(NEXT) | instid1(VALU_DEP_1)
	v_sub_nc_u16 v0, v0, v1
	v_and_b32_e32 v63, 0xffff, v0
	v_cmp_gt_u16_e32 vcc_lo, 42, v0
	s_delay_alu instid0(VALU_DEP_2)
	v_lshlrev_b32_e32 v64, 3, v63
	s_and_saveexec_b32 s3, vcc_lo
	s_cbranch_execz .LBB0_3
; %bb.2:
	s_load_b64 s[4:5], s[0:1], 0x18
	s_delay_alu instid0(VALU_DEP_1)
	v_add_nc_u32_e32 v42, 0x400, v64
	s_wait_kmcnt 0x0
	s_load_b128 s[12:15], s[4:5], 0x0
	s_wait_kmcnt 0x0
	v_mad_co_u64_u32 v[0:1], null, s14, v58, 0
	v_mad_co_u64_u32 v[2:3], null, s12, v63, 0
	s_mul_u64 s[4:5], s[12:13], 0x150
	s_delay_alu instid0(VALU_DEP_1) | instskip(NEXT) | instid1(VALU_DEP_1)
	v_mad_co_u64_u32 v[4:5], null, s15, v58, v[1:2]
	v_mad_co_u64_u32 v[5:6], null, s13, v63, v[3:4]
	v_mov_b32_e32 v1, v4
	s_delay_alu instid0(VALU_DEP_1) | instskip(NEXT) | instid1(VALU_DEP_3)
	v_lshlrev_b64_e32 v[0:1], 3, v[0:1]
	v_mov_b32_e32 v3, v5
	s_clause 0x7
	global_load_b64 v[4:5], v64, s[10:11]
	global_load_b64 v[6:7], v64, s[10:11] offset:336
	global_load_b64 v[8:9], v64, s[10:11] offset:672
	;; [unrolled: 1-line block ×7, first 2 shown]
	v_lshlrev_b64_e32 v[2:3], 3, v[2:3]
	v_add_co_u32 v0, s2, s6, v0
	s_delay_alu instid0(VALU_DEP_1) | instskip(NEXT) | instid1(VALU_DEP_2)
	v_add_co_ci_u32_e64 v1, s2, s7, v1, s2
	v_add_co_u32 v0, s2, v0, v2
	s_wait_alu 0xf1ff
	s_delay_alu instid0(VALU_DEP_2) | instskip(SKIP_1) | instid1(VALU_DEP_2)
	v_add_co_ci_u32_e64 v1, s2, v1, v3, s2
	s_wait_alu 0xfffe
	v_add_co_u32 v2, s2, v0, s4
	s_wait_alu 0xf1ff
	s_delay_alu instid0(VALU_DEP_2) | instskip(SKIP_4) | instid1(VALU_DEP_2)
	v_add_co_ci_u32_e64 v3, s2, s5, v1, s2
	global_load_b64 v[0:1], v[0:1], off
	v_add_co_u32 v12, s2, v2, s4
	s_wait_alu 0xf1ff
	v_add_co_ci_u32_e64 v13, s2, s5, v3, s2
	v_add_co_u32 v22, s2, v12, s4
	s_wait_alu 0xf1ff
	s_delay_alu instid0(VALU_DEP_2) | instskip(NEXT) | instid1(VALU_DEP_2)
	v_add_co_ci_u32_e64 v23, s2, s5, v13, s2
	v_add_co_u32 v24, s2, v22, s4
	s_wait_alu 0xf1ff
	s_delay_alu instid0(VALU_DEP_2)
	v_add_co_ci_u32_e64 v25, s2, s5, v23, s2
	s_clause 0x2
	global_load_b64 v[2:3], v[2:3], off
	global_load_b64 v[12:13], v[12:13], off
	;; [unrolled: 1-line block ×3, first 2 shown]
	v_add_co_u32 v26, s2, v24, s4
	s_wait_alu 0xf1ff
	v_add_co_ci_u32_e64 v27, s2, s5, v25, s2
	global_load_b64 v[24:25], v[24:25], off
	v_add_co_u32 v28, s2, v26, s4
	s_wait_alu 0xf1ff
	v_add_co_ci_u32_e64 v29, s2, s5, v27, s2
	global_load_b64 v[26:27], v[26:27], off
	;; [unrolled: 4-line block ×5, first 2 shown]
	s_clause 0x1
	global_load_b64 v[36:37], v64, s[10:11] offset:2688
	global_load_b64 v[38:39], v64, s[10:11] offset:3024
	global_load_b64 v[34:35], v[34:35], off
	s_wait_loadcnt 0xb
	v_mul_f32_e32 v40, v1, v5
	v_mul_f32_e32 v41, v0, v5
	s_wait_loadcnt 0xa
	v_mul_f32_e32 v5, v3, v7
	s_delay_alu instid0(VALU_DEP_3) | instskip(SKIP_1) | instid1(VALU_DEP_2)
	v_dual_mul_f32 v7, v2, v7 :: v_dual_fmac_f32 v40, v0, v4
	s_wait_loadcnt 0x9
	v_dual_mul_f32 v0, v13, v9 :: v_dual_fmac_f32 v5, v2, v6
	s_wait_loadcnt 0x8
	v_mul_f32_e32 v2, v23, v11
	v_fma_f32 v41, v1, v4, -v41
	s_delay_alu instid0(VALU_DEP_3)
	v_fmac_f32_e32 v0, v12, v8
	v_mul_f32_e32 v1, v12, v9
	s_wait_loadcnt 0x7
	v_mul_f32_e32 v4, v24, v15
	v_fma_f32 v6, v3, v6, -v7
	s_wait_loadcnt 0x6
	v_mul_f32_e32 v9, v27, v17
	v_mul_f32_e32 v3, v22, v11
	v_dual_mul_f32 v7, v25, v15 :: v_dual_fmac_f32 v2, v22, v10
	v_fma_f32 v1, v13, v8, -v1
	v_fma_f32 v8, v25, v14, -v4
	v_mul_f32_e32 v4, v26, v17
	v_fma_f32 v3, v23, v10, -v3
	v_fmac_f32_e32 v7, v24, v14
	s_wait_loadcnt 0x5
	v_mul_f32_e32 v11, v29, v19
	v_dual_mul_f32 v12, v28, v19 :: v_dual_fmac_f32 v9, v26, v16
	v_fma_f32 v10, v27, v16, -v4
	s_wait_loadcnt 0x4
	v_mul_f32_e32 v4, v30, v21
	v_mul_f32_e32 v13, v31, v21
	v_fma_f32 v12, v29, v18, -v12
	s_wait_loadcnt 0x2
	v_mul_f32_e32 v15, v33, v37
	s_wait_loadcnt 0x0
	v_dual_mul_f32 v16, v32, v37 :: v_dual_mul_f32 v17, v35, v39
	v_fma_f32 v14, v31, v20, -v4
	v_dual_fmac_f32 v11, v28, v18 :: v_dual_add_nc_u32 v4, 0x800, v64
	v_mul_f32_e32 v18, v34, v39
	v_fmac_f32_e32 v13, v30, v20
	v_fmac_f32_e32 v15, v32, v36
	v_fma_f32 v16, v33, v36, -v16
	v_fmac_f32_e32 v17, v34, v38
	v_fma_f32 v18, v35, v38, -v18
	ds_store_2addr_b64 v64, v[40:41], v[5:6] offset1:42
	ds_store_2addr_b64 v64, v[0:1], v[2:3] offset0:84 offset1:126
	ds_store_2addr_b64 v64, v[7:8], v[9:10] offset0:168 offset1:210
	;; [unrolled: 1-line block ×4, first 2 shown]
.LBB0_3:
	s_or_b32 exec_lo, exec_lo, s3
	s_clause 0x1
	s_load_b64 s[4:5], s[0:1], 0x20
	s_load_b64 s[2:3], s[0:1], 0x8
	global_wb scope:SCOPE_SE
	s_wait_dscnt 0x0
	s_wait_kmcnt 0x0
	s_barrier_signal -1
	s_barrier_wait -1
	global_inv scope:SCOPE_SE
                                        ; implicit-def: $vgpr14
                                        ; implicit-def: $vgpr10
                                        ; implicit-def: $vgpr0
                                        ; implicit-def: $vgpr4
                                        ; implicit-def: $vgpr18
	s_and_saveexec_b32 s0, vcc_lo
	s_cbranch_execz .LBB0_5
; %bb.4:
	v_add_nc_u32_e32 v0, 0x400, v64
	v_add_nc_u32_e32 v4, 0x800, v64
	ds_load_2addr_b64 v[16:19], v64 offset1:42
	ds_load_2addr_b64 v[12:15], v64 offset0:84 offset1:126
	ds_load_2addr_b64 v[8:11], v64 offset0:168 offset1:210
	;; [unrolled: 1-line block ×4, first 2 shown]
.LBB0_5:
	s_wait_alu 0xfffe
	s_or_b32 exec_lo, exec_lo, s0
	s_wait_dscnt 0x0
	v_dual_add_f32 v20, v0, v8 :: v_dual_sub_f32 v27, v13, v5
	v_dual_sub_f32 v28, v9, v1 :: v_dual_add_f32 v21, v4, v12
	v_dual_sub_f32 v26, v0, v4 :: v_dual_sub_f32 v33, v5, v1
	s_delay_alu instid0(VALU_DEP_3)
	v_fma_f32 v23, -0.5, v20, v16
	v_sub_f32_e32 v25, v8, v12
	v_sub_f32_e32 v22, v12, v8
	;; [unrolled: 1-line block ×3, first 2 shown]
	v_fma_f32 v21, -0.5, v21, v16
	v_fmamk_f32 v20, v27, 0xbf737871, v23
	v_dual_add_f32 v26, v26, v25 :: v_dual_sub_f32 v31, v12, v4
	v_add_f32_e32 v25, v5, v13
	v_dual_add_f32 v30, v1, v9 :: v_dual_add_f32 v29, v24, v22
	v_sub_f32_e32 v38, v8, v0
	v_fmac_f32_e32 v20, 0xbf167918, v28
	s_delay_alu instid0(VALU_DEP_4) | instskip(NEXT) | instid1(VALU_DEP_4)
	v_fma_f32 v25, -0.5, v25, v17
	v_fma_f32 v30, -0.5, v30, v17
	v_sub_f32_e32 v32, v13, v9
	v_fmamk_f32 v22, v28, 0xbf737871, v21
	v_fmac_f32_e32 v21, 0x3f737871, v28
	s_delay_alu instid0(VALU_DEP_4) | instskip(NEXT) | instid1(VALU_DEP_3)
	v_dual_sub_f32 v35, v6, v2 :: v_dual_fmamk_f32 v24, v31, 0x3f737871, v30
	v_dual_add_f32 v39, v33, v32 :: v_dual_fmac_f32 v22, 0x3f167918, v27
	s_delay_alu instid0(VALU_DEP_3) | instskip(SKIP_2) | instid1(VALU_DEP_3)
	v_dual_fmac_f32 v21, 0xbf167918, v27 :: v_dual_sub_f32 v32, v9, v13
	v_sub_f32_e32 v33, v1, v5
	v_dual_fmac_f32 v20, 0x3e9e377a, v29 :: v_dual_sub_f32 v41, v11, v15
	v_fmac_f32_e32 v21, 0x3e9e377a, v26
	v_sub_f32_e32 v36, v10, v14
	s_delay_alu instid0(VALU_DEP_4) | instskip(SKIP_3) | instid1(VALU_DEP_4)
	v_dual_add_f32 v32, v33, v32 :: v_dual_add_f32 v33, v14, v6
	v_dual_fmac_f32 v22, 0x3e9e377a, v26 :: v_dual_sub_f32 v45, v15, v7
	v_fmamk_f32 v26, v38, 0x3f737871, v25
	v_fmac_f32_e32 v25, 0xbf737871, v38
	v_fma_f32 v33, -0.5, v33, v18
	v_sub_f32_e32 v37, v2, v6
	v_dual_sub_f32 v43, v3, v7 :: v_dual_sub_f32 v52, v14, v6
	s_delay_alu instid0(VALU_DEP_4) | instskip(SKIP_3) | instid1(VALU_DEP_4)
	v_dual_fmac_f32 v25, 0x3f167918, v31 :: v_dual_add_f32 v34, v10, v2
	v_fmac_f32_e32 v24, 0x3f167918, v38
	v_sub_f32_e32 v50, v10, v2
	v_mul_lo_u16 v65, v63, 10
	v_fmac_f32_e32 v25, 0x3e9e377a, v32
	v_fma_f32 v40, -0.5, v34, v18
	v_sub_f32_e32 v34, v14, v10
	global_wb scope:SCOPE_SE
	s_barrier_signal -1
	s_barrier_wait -1
	global_inv scope:SCOPE_SE
	v_add_f32_e32 v42, v34, v35
	v_add_f32_e32 v35, v15, v7
	v_fmac_f32_e32 v24, 0x3e9e377a, v39
	s_delay_alu instid0(VALU_DEP_2) | instskip(SKIP_1) | instid1(VALU_DEP_2)
	v_fma_f32 v35, -0.5, v35, v19
	v_dual_add_f32 v36, v36, v37 :: v_dual_add_f32 v37, v11, v3
	v_fmamk_f32 v48, v50, 0x3f737871, v35
	v_fmac_f32_e32 v35, 0xbf737871, v50
	s_delay_alu instid0(VALU_DEP_3) | instskip(SKIP_1) | instid1(VALU_DEP_4)
	v_fma_f32 v51, -0.5, v37, v19
	v_sub_f32_e32 v44, v11, v3
	v_dual_add_f32 v37, v41, v43 :: v_dual_fmac_f32 v48, 0xbf167918, v52
	v_sub_f32_e32 v41, v15, v11
	s_delay_alu instid0(VALU_DEP_4) | instskip(NEXT) | instid1(VALU_DEP_4)
	v_fmamk_f32 v49, v52, 0x3f737871, v51
	v_dual_fmamk_f32 v34, v44, 0xbf737871, v33 :: v_dual_sub_f32 v43, v7, v3
	v_fmac_f32_e32 v33, 0x3f737871, v44
	v_fmac_f32_e32 v26, 0xbf167918, v31
	s_delay_alu instid0(VALU_DEP_3) | instskip(NEXT) | instid1(VALU_DEP_3)
	v_add_f32_e32 v53, v41, v43
	v_fmac_f32_e32 v33, 0xbf167918, v45
	s_delay_alu instid0(VALU_DEP_3) | instskip(SKIP_1) | instid1(VALU_DEP_3)
	v_fmac_f32_e32 v26, 0x3e9e377a, v32
	v_fmamk_f32 v32, v45, 0xbf737871, v40
	v_dual_fmac_f32 v48, 0x3e9e377a, v37 :: v_dual_fmac_f32 v33, 0x3e9e377a, v36
	s_delay_alu instid0(VALU_DEP_1) | instskip(SKIP_2) | instid1(VALU_DEP_2)
	v_mul_f32_e32 v41, 0x3f737871, v48
	v_dual_fmac_f32 v35, 0x3f167918, v52 :: v_dual_fmac_f32 v34, 0x3f167918, v45
	v_fmac_f32_e32 v49, 0x3f167918, v50
	v_dual_fmac_f32 v35, 0x3e9e377a, v37 :: v_dual_fmac_f32 v34, 0x3e9e377a, v36
	s_delay_alu instid0(VALU_DEP_2) | instskip(NEXT) | instid1(VALU_DEP_2)
	v_fmac_f32_e32 v49, 0x3e9e377a, v53
	v_dual_mul_f32 v36, 0x3e9e377a, v33 :: v_dual_fmac_f32 v41, 0x3e9e377a, v34
	v_mul_f32_e32 v47, 0xbf737871, v34
	s_delay_alu instid0(VALU_DEP_4) | instskip(NEXT) | instid1(VALU_DEP_4)
	v_mul_f32_e32 v34, 0x3e9e377a, v35
	v_mul_f32_e32 v54, 0x3f4f1bbd, v49
	s_delay_alu instid0(VALU_DEP_4) | instskip(NEXT) | instid1(VALU_DEP_4)
	v_fma_f32 v46, 0x3f737871, v35, -v36
	v_fmac_f32_e32 v47, 0x3e9e377a, v48
	v_fmac_f32_e32 v32, 0xbf167918, v44
	v_fma_f32 v48, 0xbf737871, v33, -v34
	s_delay_alu instid0(VALU_DEP_3) | instskip(NEXT) | instid1(VALU_DEP_2)
	v_dual_sub_f32 v34, v21, v46 :: v_dual_sub_f32 v33, v26, v47
	v_dual_fmac_f32 v32, 0x3e9e377a, v42 :: v_dual_sub_f32 v35, v25, v48
	s_delay_alu instid0(VALU_DEP_1) | instskip(NEXT) | instid1(VALU_DEP_1)
	v_mul_f32_e32 v37, 0x3f4f1bbd, v32
	v_fma_f32 v43, 0x3f167918, v49, -v37
	v_fma_f32 v49, 0xbf167918, v32, -v54
	v_sub_f32_e32 v32, v22, v41
	s_delay_alu instid0(VALU_DEP_3) | instskip(NEXT) | instid1(VALU_DEP_3)
	v_sub_f32_e32 v36, v20, v43
	v_sub_f32_e32 v37, v24, v49
	s_and_saveexec_b32 s0, vcc_lo
	s_cbranch_execz .LBB0_7
; %bb.6:
	v_dual_mul_f32 v27, 0x3f737871, v27 :: v_dual_mul_f32 v52, 0x3f737871, v52
	v_mul_f32_e32 v45, 0x3f737871, v45
	v_mul_f32_e32 v31, 0x3f737871, v31
	;; [unrolled: 1-line block ×4, first 2 shown]
	v_dual_mul_f32 v39, 0x3e9e377a, v39 :: v_dual_mul_f32 v42, 0x3e9e377a, v42
	v_dual_add_f32 v40, v45, v40 :: v_dual_mul_f32 v45, 0x3f167918, v50
	v_dual_sub_f32 v30, v30, v31 :: v_dual_sub_f32 v31, v51, v52
	v_dual_mul_f32 v44, 0x3f167918, v44 :: v_dual_add_f32 v13, v13, v17
	s_delay_alu instid0(VALU_DEP_2) | instskip(NEXT) | instid1(VALU_DEP_2)
	v_dual_mul_f32 v29, 0x3e9e377a, v29 :: v_dual_sub_f32 v30, v30, v38
	v_dual_sub_f32 v31, v31, v45 :: v_dual_add_f32 v40, v44, v40
	v_add_f32_e32 v15, v15, v19
	s_delay_alu instid0(VALU_DEP_4) | instskip(SKIP_1) | instid1(VALU_DEP_4)
	v_dual_add_f32 v9, v9, v13 :: v_dual_add_f32 v12, v12, v16
	v_add_f32_e32 v13, v14, v18
	v_add_f32_e32 v38, v42, v40
	v_dual_mul_f32 v44, 0x3e9e377a, v53 :: v_dual_add_f32 v17, v39, v30
	s_delay_alu instid0(VALU_DEP_4) | instskip(NEXT) | instid1(VALU_DEP_4)
	v_dual_add_f32 v1, v1, v9 :: v_dual_add_f32 v8, v8, v12
	v_dual_add_f32 v9, v10, v13 :: v_dual_add_f32 v10, v27, v23
	s_delay_alu instid0(VALU_DEP_2) | instskip(NEXT) | instid1(VALU_DEP_4)
	v_dual_add_f32 v11, v11, v15 :: v_dual_add_f32 v12, v5, v1
	v_dual_add_f32 v30, v44, v31 :: v_dual_mul_f32 v19, 0x3f167918, v38
	s_delay_alu instid0(VALU_DEP_2) | instskip(NEXT) | instid1(VALU_DEP_4)
	v_dual_add_f32 v0, v0, v8 :: v_dual_add_f32 v3, v3, v11
	v_dual_add_f32 v1, v2, v9 :: v_dual_add_f32 v2, v28, v10
	s_delay_alu instid0(VALU_DEP_3) | instskip(NEXT) | instid1(VALU_DEP_3)
	v_fma_f32 v14, 0x3f4f1bbd, v30, -v19
	v_dual_mul_f32 v13, 0x3f167918, v30 :: v_dual_add_f32 v0, v4, v0
	s_delay_alu instid0(VALU_DEP_4) | instskip(NEXT) | instid1(VALU_DEP_3)
	v_add_f32_e32 v8, v7, v3
	v_dual_add_f32 v4, v6, v1 :: v_dual_sub_f32 v31, v17, v14
	v_add_f32_e32 v15, v29, v2
	s_delay_alu instid0(VALU_DEP_4) | instskip(NEXT) | instid1(VALU_DEP_4)
	v_fmac_f32_e32 v13, 0x3f4f1bbd, v38
	v_sub_f32_e32 v3, v12, v8
	v_dual_add_f32 v11, v17, v14 :: v_dual_and_b32 v14, 0xffff, v65
	v_dual_sub_f32 v2, v0, v4 :: v_dual_add_f32 v5, v26, v47
	v_add_f32_e32 v9, v8, v12
	v_add_f32_e32 v8, v4, v0
	v_dual_sub_f32 v30, v15, v13 :: v_dual_add_f32 v7, v25, v48
	v_add_f32_e32 v10, v15, v13
	v_dual_add_f32 v1, v24, v49 :: v_dual_lshlrev_b32 v12, 3, v14
	v_add_f32_e32 v6, v21, v46
	v_add_f32_e32 v4, v22, v41
	v_add_f32_e32 v0, v20, v43
	ds_store_b128 v12, v[8:11]
	ds_store_b128 v12, v[4:7] offset:16
	ds_store_b128 v12, v[0:3] offset:32
	;; [unrolled: 1-line block ×4, first 2 shown]
.LBB0_7:
	s_wait_alu 0xfffe
	s_or_b32 exec_lo, exec_lo, s0
	v_and_b32_e32 v0, 0xff, v63
	s_load_b128 s[4:7], s[4:5], 0x0
	global_wb scope:SCOPE_SE
	s_wait_dscnt 0x0
	s_wait_kmcnt 0x0
	s_barrier_signal -1
	s_barrier_wait -1
	v_mul_lo_u16 v0, 0xcd, v0
	global_inv scope:SCOPE_SE
	v_cmp_gt_u16_e64 s0, 10, v63
	v_lshrrev_b16 v13, 11, v0
	s_delay_alu instid0(VALU_DEP_1) | instskip(NEXT) | instid1(VALU_DEP_1)
	v_mul_lo_u16 v0, v13, 10
	v_sub_nc_u16 v0, v63, v0
	s_delay_alu instid0(VALU_DEP_1) | instskip(NEXT) | instid1(VALU_DEP_1)
	v_and_b32_e32 v15, 0xff, v0
	v_mul_u32_u24_e32 v0, 6, v15
	s_delay_alu instid0(VALU_DEP_1)
	v_lshlrev_b32_e32 v0, 3, v0
	s_clause 0x2
	global_load_b128 v[16:19], v0, s[2:3]
	global_load_b128 v[4:7], v0, s[2:3] offset:16
	global_load_b128 v[0:3], v0, s[2:3] offset:32
	v_add_nc_u32_e32 v8, 0x400, v64
	ds_load_2addr_b64 v[9:12], v64 offset1:60
	ds_load_2addr_b64 v[20:23], v64 offset0:120 offset1:180
	ds_load_2addr_b64 v[24:27], v8 offset0:112 offset1:172
	v_and_b32_e32 v28, 0xffff, v13
	ds_load_b64 v[13:14], v64 offset:2880
	v_add_nc_u32_e32 v67, 0x800, v64
	global_wb scope:SCOPE_SE
	s_wait_loadcnt_dscnt 0x0
	s_barrier_signal -1
	s_barrier_wait -1
	global_inv scope:SCOPE_SE
	v_mul_f32_e32 v30, v20, v19
	v_mul_f32_e32 v39, v25, v7
	v_mul_u32_u24_e32 v28, 0x46, v28
	v_mul_f32_e32 v29, v21, v19
	v_dual_mul_f32 v31, v23, v5 :: v_dual_mul_f32 v40, v24, v7
	v_mul_f32_e32 v41, v27, v1
	s_delay_alu instid0(VALU_DEP_4) | instskip(SKIP_2) | instid1(VALU_DEP_2)
	v_add_lshl_u32 v66, v28, v15, 3
	v_mul_f32_e32 v15, v12, v17
	v_dual_mul_f32 v28, v11, v17 :: v_dual_mul_f32 v43, v14, v3
	v_fma_f32 v11, v11, v16, -v15
	s_delay_alu instid0(VALU_DEP_2)
	v_fmac_f32_e32 v28, v12, v16
	v_mul_f32_e32 v44, v13, v3
	v_fma_f32 v12, v20, v18, -v29
	v_fma_f32 v15, v22, v4, -v31
	;; [unrolled: 1-line block ×4, first 2 shown]
	s_delay_alu instid0(VALU_DEP_1) | instskip(SKIP_4) | instid1(VALU_DEP_4)
	v_dual_fmac_f32 v30, v21, v18 :: v_dual_add_f32 v21, v11, v13
	v_dual_sub_f32 v11, v11, v13 :: v_dual_fmac_f32 v44, v14, v2
	v_fmac_f32_e32 v40, v25, v6
	v_fma_f32 v14, v26, v0, -v41
	v_dual_mul_f32 v42, v26, v1 :: v_dual_add_f32 v25, v15, v20
	v_dual_mul_f32 v38, v22, v5 :: v_dual_sub_f32 v13, v28, v44
	s_delay_alu instid0(VALU_DEP_1) | instskip(NEXT) | instid1(VALU_DEP_3)
	v_dual_sub_f32 v15, v20, v15 :: v_dual_fmac_f32 v38, v23, v4
	v_dual_add_f32 v23, v12, v14 :: v_dual_fmac_f32 v42, v27, v0
	v_sub_f32_e32 v12, v12, v14
	s_delay_alu instid0(VALU_DEP_2) | instskip(NEXT) | instid1(VALU_DEP_4)
	v_dual_add_f32 v22, v28, v44 :: v_dual_sub_f32 v29, v23, v21
	v_dual_add_f32 v27, v23, v21 :: v_dual_add_f32 v26, v38, v40
	s_delay_alu instid0(VALU_DEP_3) | instskip(SKIP_3) | instid1(VALU_DEP_3)
	v_dual_sub_f32 v20, v40, v38 :: v_dual_sub_f32 v39, v15, v12
	v_dual_sub_f32 v21, v21, v25 :: v_dual_add_f32 v24, v30, v42
	v_dual_sub_f32 v23, v25, v23 :: v_dual_sub_f32 v14, v30, v42
	v_add_f32_e32 v31, v15, v12
	v_dual_sub_f32 v15, v11, v15 :: v_dual_add_f32 v28, v24, v22
	s_delay_alu instid0(VALU_DEP_3) | instskip(SKIP_1) | instid1(VALU_DEP_4)
	v_dual_add_f32 v25, v25, v27 :: v_dual_add_f32 v38, v20, v14
	v_sub_f32_e32 v12, v12, v11
	v_add_f32_e32 v11, v31, v11
	v_mul_f32_e32 v21, 0x3f4a47b2, v21
	s_delay_alu instid0(VALU_DEP_4)
	v_add_f32_e32 v9, v9, v25
	v_mul_f32_e32 v27, 0x3d64c772, v23
	v_dual_mul_f32 v31, 0xbf08b237, v39 :: v_dual_sub_f32 v30, v24, v22
	v_sub_f32_e32 v22, v22, v26
	v_sub_f32_e32 v24, v26, v24
	v_dual_sub_f32 v40, v20, v14 :: v_dual_mul_f32 v39, 0x3f5ff5aa, v12
	v_dual_sub_f32 v20, v13, v20 :: v_dual_fmamk_f32 v23, v23, 0x3d64c772, v21
	v_sub_f32_e32 v14, v14, v13
	v_fma_f32 v27, 0x3f3bfb3b, v29, -v27
	v_fma_f32 v21, 0xbf3bfb3b, v29, -v21
	v_dual_fmamk_f32 v29, v15, 0x3eae86e6, v31 :: v_dual_add_f32 v26, v26, v28
	v_mul_f32_e32 v28, 0x3d64c772, v24
	v_fma_f32 v31, 0x3f5ff5aa, v12, -v31
	v_add_f32_e32 v13, v38, v13
	s_delay_alu instid0(VALU_DEP_4) | instskip(NEXT) | instid1(VALU_DEP_4)
	v_dual_fmac_f32 v29, 0x3ee1c552, v11 :: v_dual_add_f32 v10, v10, v26
	v_fma_f32 v28, 0x3f3bfb3b, v30, -v28
	s_delay_alu instid0(VALU_DEP_4)
	v_fmac_f32_e32 v31, 0x3ee1c552, v11
	v_mul_f32_e32 v38, 0xbf08b237, v40
	v_mul_f32_e32 v40, 0x3f5ff5aa, v14
	v_fmamk_f32 v12, v25, 0xbf955555, v9
	v_mul_f32_e32 v22, 0x3f4a47b2, v22
	v_fma_f32 v15, 0xbeae86e6, v15, -v39
                                        ; implicit-def: $vgpr42
	s_delay_alu instid0(VALU_DEP_4) | instskip(NEXT) | instid1(VALU_DEP_3)
	v_fma_f32 v39, 0xbeae86e6, v20, -v40
	v_fmamk_f32 v24, v24, 0x3d64c772, v22
	v_fma_f32 v22, 0xbf3bfb3b, v30, -v22
	v_fmamk_f32 v30, v20, 0x3eae86e6, v38
	v_fma_f32 v38, 0x3f5ff5aa, v14, -v38
	v_fmac_f32_e32 v15, 0x3ee1c552, v11
	v_fmamk_f32 v14, v26, 0xbf955555, v10
	v_dual_fmac_f32 v39, 0x3ee1c552, v13 :: v_dual_add_f32 v26, v23, v12
	v_dual_fmac_f32 v30, 0x3ee1c552, v13 :: v_dual_add_f32 v23, v27, v12
	s_delay_alu instid0(VALU_DEP_3) | instskip(SKIP_1) | instid1(VALU_DEP_3)
	v_add_f32_e32 v27, v28, v14
	v_add_f32_e32 v25, v22, v14
	;; [unrolled: 1-line block ×4, first 2 shown]
	v_fmac_f32_e32 v38, 0x3ee1c552, v13
	s_delay_alu instid0(VALU_DEP_4) | instskip(SKIP_1) | instid1(VALU_DEP_3)
	v_dual_sub_f32 v14, v25, v15 :: v_dual_add_f32 v25, v15, v25
	v_sub_f32_e32 v30, v26, v30
	v_sub_f32_e32 v20, v23, v38
	v_add_f32_e32 v22, v38, v23
	v_dual_sub_f32 v23, v27, v31 :: v_dual_add_f32 v24, v21, v12
	v_dual_sub_f32 v12, v40, v29 :: v_dual_add_f32 v21, v31, v27
	v_add_f32_e32 v31, v29, v40
	s_delay_alu instid0(VALU_DEP_3)
	v_dual_add_f32 v13, v39, v24 :: v_dual_sub_f32 v24, v24, v39
	ds_store_2addr_b64 v66, v[9:10], v[11:12] offset1:10
	ds_store_2addr_b64 v66, v[13:14], v[20:21] offset0:20 offset1:30
	ds_store_2addr_b64 v66, v[22:23], v[24:25] offset0:40 offset1:50
	ds_store_b64 v66, v[30:31] offset:480
	global_wb scope:SCOPE_SE
	s_wait_dscnt 0x0
	s_barrier_signal -1
	s_barrier_wait -1
	global_inv scope:SCOPE_SE
	ds_load_2addr_b64 v[38:41], v64 offset1:70
	ds_load_2addr_b64 v[50:53], v64 offset0:140 offset1:210
	ds_load_2addr_b64 v[46:49], v67 offset0:24 offset1:94
	s_and_saveexec_b32 s1, s0
	s_cbranch_execz .LBB0_9
; %bb.8:
	ds_load_2addr_b64 v[30:33], v64 offset0:60 offset1:130
	ds_load_2addr_b64 v[34:37], v8 offset0:72 offset1:142
	ds_load_2addr_b64 v[42:45], v67 offset0:84 offset1:154
.LBB0_9:
	s_wait_alu 0xfffe
	s_or_b32 exec_lo, exec_lo, s1
	v_mad_co_u64_u32 v[8:9], null, v63, 40, s[2:3]
	s_clause 0x2
	global_load_b128 v[24:27], v[8:9], off offset:480
	global_load_b128 v[20:23], v[8:9], off offset:496
	global_load_b64 v[61:62], v[8:9], off offset:512
	v_add_nc_u32_e32 v8, 60, v63
	v_add_nc_u32_e32 v9, -10, v63
	s_delay_alu instid0(VALU_DEP_1) | instskip(NEXT) | instid1(VALU_DEP_1)
	v_cndmask_b32_e64 v8, v9, v8, s0
	v_mul_i32_i24_e32 v9, 40, v8
	v_mul_hi_i32_i24_e32 v8, 40, v8
	s_delay_alu instid0(VALU_DEP_2) | instskip(SKIP_1) | instid1(VALU_DEP_2)
	v_add_co_u32 v28, s1, s2, v9
	s_wait_alu 0xf1ff
	v_add_co_ci_u32_e64 v29, s1, s3, v8, s1
	s_clause 0x2
	global_load_b128 v[12:15], v[28:29], off offset:480
	global_load_b128 v[8:11], v[28:29], off offset:496
	global_load_b64 v[59:60], v[28:29], off offset:512
	s_wait_loadcnt_dscnt 0x502
	v_mul_f32_e32 v28, v41, v25
	s_wait_loadcnt_dscnt 0x401
	v_dual_mul_f32 v54, v51, v27 :: v_dual_mul_f32 v57, v52, v21
	v_mul_f32_e32 v29, v40, v25
	v_dual_mul_f32 v55, v50, v27 :: v_dual_mul_f32 v56, v53, v21
	s_wait_loadcnt_dscnt 0x300
	v_dual_mul_f32 v69, v46, v23 :: v_dual_mul_f32 v70, v49, v62
	v_fma_f32 v28, v40, v24, -v28
	v_fma_f32 v40, v50, v26, -v54
	v_dual_mul_f32 v68, v47, v23 :: v_dual_mul_f32 v71, v48, v62
	v_fmac_f32_e32 v55, v51, v26
	v_fmac_f32_e32 v69, v47, v22
	v_fma_f32 v47, v48, v61, -v70
	v_add_f32_e32 v48, v38, v40
	v_fmac_f32_e32 v29, v41, v24
	v_fma_f32 v41, v52, v20, -v56
	v_fma_f32 v46, v46, v22, -v68
	v_fmac_f32_e32 v71, v49, v61
	v_add_f32_e32 v51, v39, v55
	s_delay_alu instid0(VALU_DEP_4) | instskip(SKIP_3) | instid1(VALU_DEP_3)
	v_add_f32_e32 v54, v41, v47
	v_dual_fmac_f32 v57, v53, v20 :: v_dual_add_f32 v52, v55, v69
	v_dual_sub_f32 v50, v55, v69 :: v_dual_add_f32 v49, v40, v46
	v_sub_f32_e32 v40, v40, v46
	v_add_f32_e32 v56, v29, v57
	s_wait_loadcnt 0x2
	v_dual_add_f32 v53, v28, v41 :: v_dual_mul_f32 v72, v35, v15
	v_dual_sub_f32 v55, v57, v71 :: v_dual_mul_f32 v70, v32, v13
	v_dual_add_f32 v57, v57, v71 :: v_dual_add_f32 v46, v48, v46
	s_wait_loadcnt 0x1
	v_dual_mul_f32 v73, v34, v15 :: v_dual_mul_f32 v74, v37, v9
	v_dual_mul_f32 v75, v36, v9 :: v_dual_mul_f32 v76, v43, v11
	s_wait_loadcnt 0x0
	v_dual_mul_f32 v77, v42, v11 :: v_dual_mul_f32 v78, v45, v60
	v_dual_mul_f32 v79, v44, v60 :: v_dual_mul_f32 v68, v33, v13
	v_dual_sub_f32 v41, v41, v47 :: v_dual_add_f32 v48, v51, v69
	v_fma_f32 v80, -0.5, v49, v38
	v_fma_f32 v51, -0.5, v52, v39
	v_add_f32_e32 v38, v53, v47
	v_dual_fmac_f32 v28, -0.5, v54 :: v_dual_add_f32 v39, v56, v71
	v_dual_fmac_f32 v29, -0.5, v57 :: v_dual_fmac_f32 v70, v33, v12
	v_fma_f32 v34, v34, v14, -v72
	v_fmac_f32_e32 v73, v35, v14
	v_fma_f32 v35, v36, v8, -v74
	v_fmac_f32_e32 v75, v37, v8
	v_fma_f32 v36, v42, v10, -v76
	v_fma_f32 v37, v44, v59, -v78
	v_fmac_f32_e32 v79, v45, v59
	v_fma_f32 v47, v32, v12, -v68
	v_dual_fmac_f32 v77, v43, v10 :: v_dual_fmamk_f32 v44, v50, 0x3f5db3d7, v80
	v_dual_fmac_f32 v80, 0xbf5db3d7, v50 :: v_dual_fmamk_f32 v45, v40, 0xbf5db3d7, v51
	v_dual_add_f32 v32, v46, v38 :: v_dual_fmac_f32 v51, 0x3f5db3d7, v40
	v_sub_f32_e32 v38, v46, v38
	v_fmamk_f32 v40, v55, 0x3f5db3d7, v28
	v_fmac_f32_e32 v28, 0xbf5db3d7, v55
	v_dual_fmamk_f32 v42, v41, 0xbf5db3d7, v29 :: v_dual_add_f32 v33, v48, v39
	v_fmac_f32_e32 v29, 0x3f5db3d7, v41
	v_dual_sub_f32 v39, v48, v39 :: v_dual_sub_f32 v46, v73, v77
	v_dual_add_f32 v41, v30, v34 :: v_dual_add_f32 v48, v31, v73
	v_dual_add_f32 v43, v34, v36 :: v_dual_add_f32 v50, v47, v35
	v_dual_add_f32 v52, v35, v37 :: v_dual_mul_f32 v57, -0.5, v28
	v_dual_add_f32 v55, v75, v79 :: v_dual_mul_f32 v68, 0xbf5db3d7, v40
	v_dual_add_f32 v49, v73, v77 :: v_dual_add_f32 v54, v70, v75
	v_dual_sub_f32 v34, v34, v36 :: v_dual_sub_f32 v53, v75, v79
	v_dual_mul_f32 v56, 0x3f5db3d7, v42 :: v_dual_sub_f32 v35, v35, v37
	v_dual_add_f32 v36, v41, v36 :: v_dual_mul_f32 v69, -0.5, v29
	v_dual_fmac_f32 v30, -0.5, v43 :: v_dual_add_f32 v41, v48, v77
	v_dual_fmac_f32 v70, -0.5, v55 :: v_dual_fmac_f32 v47, -0.5, v52
	s_delay_alu instid0(VALU_DEP_4)
	v_dual_fmac_f32 v31, -0.5, v49 :: v_dual_fmac_f32 v56, 0.5, v40
	v_dual_add_f32 v37, v50, v37 :: v_dual_fmac_f32 v68, 0.5, v42
	v_add_f32_e32 v49, v54, v79
	v_fmac_f32_e32 v57, 0x3f5db3d7, v29
	v_fmac_f32_e32 v69, 0xbf5db3d7, v28
	v_fmamk_f32 v28, v46, 0x3f5db3d7, v30
	v_fmac_f32_e32 v30, 0xbf5db3d7, v46
	v_fmamk_f32 v46, v35, 0xbf5db3d7, v70
	v_fmamk_f32 v40, v53, 0x3f5db3d7, v47
	v_fmac_f32_e32 v47, 0xbf5db3d7, v53
	v_fmac_f32_e32 v70, 0x3f5db3d7, v35
	v_dual_fmamk_f32 v29, v34, 0xbf5db3d7, v31 :: v_dual_add_f32 v42, v36, v37
	v_dual_fmac_f32 v31, 0x3f5db3d7, v34 :: v_dual_sub_f32 v48, v36, v37
	v_dual_add_f32 v43, v41, v49 :: v_dual_sub_f32 v54, v44, v56
	v_dual_add_f32 v34, v44, v56 :: v_dual_sub_f32 v49, v41, v49
	v_dual_mul_f32 v50, -0.5, v47 :: v_dual_add_f32 v37, v51, v69
	v_dual_sub_f32 v56, v80, v57 :: v_dual_mul_f32 v41, 0x3f5db3d7, v46
	v_dual_mul_f32 v52, 0xbf5db3d7, v40 :: v_dual_mul_f32 v53, -0.5, v70
	s_delay_alu instid0(VALU_DEP_3) | instskip(NEXT) | instid1(VALU_DEP_2)
	v_dual_sub_f32 v55, v45, v68 :: v_dual_fmac_f32 v50, 0x3f5db3d7, v70
	v_dual_fmac_f32 v41, 0.5, v40 :: v_dual_fmac_f32 v52, 0.5, v46
	s_delay_alu instid0(VALU_DEP_3) | instskip(SKIP_1) | instid1(VALU_DEP_4)
	v_dual_fmac_f32 v53, 0xbf5db3d7, v47 :: v_dual_add_f32 v36, v80, v57
	v_add_f32_e32 v35, v45, v68
	v_dual_sub_f32 v57, v51, v69 :: v_dual_add_f32 v46, v30, v50
	s_delay_alu instid0(VALU_DEP_4)
	v_dual_add_f32 v44, v28, v41 :: v_dual_add_f32 v45, v29, v52
	v_sub_f32_e32 v28, v28, v41
	v_dual_add_f32 v47, v31, v53 :: v_dual_sub_f32 v30, v30, v50
	v_sub_f32_e32 v29, v29, v52
	v_sub_f32_e32 v31, v31, v53
	ds_store_2addr_b64 v64, v[32:33], v[34:35] offset1:70
	ds_store_2addr_b64 v64, v[36:37], v[38:39] offset0:140 offset1:210
	ds_store_2addr_b64 v67, v[54:55], v[56:57] offset0:24 offset1:94
	s_and_saveexec_b32 s1, s0
	s_cbranch_execz .LBB0_11
; %bb.10:
	v_add_nc_u32_e32 v40, 0x400, v64
	v_add_nc_u32_e32 v41, 0x800, v64
	ds_store_2addr_b64 v64, v[42:43], v[44:45] offset0:60 offset1:130
	ds_store_2addr_b64 v40, v[46:47], v[48:49] offset0:72 offset1:142
	;; [unrolled: 1-line block ×3, first 2 shown]
.LBB0_11:
	s_wait_alu 0xfffe
	s_or_b32 exec_lo, exec_lo, s1
	global_wb scope:SCOPE_SE
	s_wait_dscnt 0x0
	s_barrier_signal -1
	s_barrier_wait -1
	global_inv scope:SCOPE_SE
	s_and_saveexec_b32 s1, vcc_lo
	s_cbranch_execz .LBB0_13
; %bb.12:
	global_load_b64 v[40:41], v64, s[10:11] offset:3360
	s_add_nc_u64 s[2:3], s[10:11], 0xd20
	s_clause 0x8
	global_load_b64 v[71:72], v64, s[2:3] offset:336
	global_load_b64 v[73:74], v64, s[2:3] offset:672
	;; [unrolled: 1-line block ×9, first 2 shown]
	ds_load_b64 v[50:51], v64
	s_wait_loadcnt_dscnt 0x900
	v_mul_f32_e32 v52, v51, v41
	v_mul_f32_e32 v53, v50, v41
	s_delay_alu instid0(VALU_DEP_2) | instskip(NEXT) | instid1(VALU_DEP_2)
	v_fma_f32 v52, v50, v40, -v52
	v_fmac_f32_e32 v53, v51, v40
	ds_store_b64 v64, v[52:53]
	ds_load_2addr_b64 v[50:53], v64 offset0:42 offset1:84
	ds_load_2addr_b64 v[67:70], v64 offset0:126 offset1:168
	s_wait_loadcnt_dscnt 0x801
	v_mul_f32_e32 v40, v51, v72
	s_wait_loadcnt 0x7
	v_dual_mul_f32 v41, v50, v72 :: v_dual_mul_f32 v72, v52, v74
	s_wait_loadcnt_dscnt 0x600
	v_dual_mul_f32 v89, v53, v74 :: v_dual_mul_f32 v90, v68, v76
	s_wait_loadcnt 0x5
	v_dual_mul_f32 v74, v67, v76 :: v_dual_mul_f32 v91, v70, v78
	v_dual_mul_f32 v76, v69, v78 :: v_dual_fmac_f32 v41, v51, v71
	v_fma_f32 v40, v50, v71, -v40
	v_fma_f32 v71, v52, v73, -v89
	v_fmac_f32_e32 v72, v53, v73
	v_fma_f32 v73, v67, v75, -v90
	v_fmac_f32_e32 v74, v68, v75
	v_fma_f32 v75, v69, v77, -v91
	v_dual_fmac_f32 v76, v70, v77 :: v_dual_add_nc_u32 v77, 0x400, v64
	ds_store_2addr_b64 v64, v[40:41], v[71:72] offset0:42 offset1:84
	ds_store_2addr_b64 v64, v[73:74], v[75:76] offset0:126 offset1:168
	ds_load_b64 v[40:41], v64 offset:1680
	v_add_nc_u32_e32 v78, 0x800, v64
	s_wait_loadcnt_dscnt 0x400
	v_mul_f32_e32 v50, v41, v80
	v_mul_f32_e32 v51, v40, v80
	s_delay_alu instid0(VALU_DEP_2) | instskip(NEXT) | instid1(VALU_DEP_2)
	v_fma_f32 v50, v40, v79, -v50
	v_fmac_f32_e32 v51, v41, v79
	ds_store_b64 v64, v[50:51] offset:1680
	ds_load_2addr_b64 v[50:53], v77 offset0:124 offset1:166
	ds_load_2addr_b64 v[67:70], v78 offset0:80 offset1:122
	s_wait_loadcnt_dscnt 0x201
	v_dual_mul_f32 v40, v51, v82 :: v_dual_mul_f32 v71, v53, v84
	v_dual_mul_f32 v41, v50, v82 :: v_dual_mul_f32 v72, v52, v84
	s_wait_loadcnt_dscnt 0x100
	v_mul_f32_e32 v73, v68, v86
	s_wait_loadcnt 0x0
	v_dual_mul_f32 v74, v67, v86 :: v_dual_mul_f32 v75, v70, v88
	v_mul_f32_e32 v76, v69, v88
	v_fma_f32 v40, v50, v81, -v40
	v_fmac_f32_e32 v41, v51, v81
	v_fma_f32 v71, v52, v83, -v71
	v_fmac_f32_e32 v72, v53, v83
	v_fma_f32 v73, v67, v85, -v73
	v_fmac_f32_e32 v74, v68, v85
	v_fma_f32 v75, v69, v87, -v75
	v_fmac_f32_e32 v76, v70, v87
	ds_store_2addr_b64 v77, v[40:41], v[71:72] offset0:124 offset1:166
	ds_store_2addr_b64 v78, v[73:74], v[75:76] offset0:80 offset1:122
.LBB0_13:
	s_wait_alu 0xfffe
	s_or_b32 exec_lo, exec_lo, s1
	global_wb scope:SCOPE_SE
	s_wait_dscnt 0x0
	s_barrier_signal -1
	s_barrier_wait -1
	global_inv scope:SCOPE_SE
	s_and_saveexec_b32 s1, vcc_lo
	s_cbranch_execz .LBB0_15
; %bb.14:
	v_add_nc_u32_e32 v40, 0x400, v64
	v_add_nc_u32_e32 v41, 0x800, v64
	ds_load_2addr_b64 v[32:35], v64 offset1:42
	ds_load_2addr_b64 v[36:39], v64 offset0:84 offset1:126
	ds_load_2addr_b64 v[54:57], v64 offset0:168 offset1:210
	;; [unrolled: 1-line block ×4, first 2 shown]
.LBB0_15:
	s_wait_alu 0xfffe
	s_or_b32 exec_lo, exec_lo, s1
	s_wait_dscnt 0x1
	v_dual_add_f32 v40, v42, v54 :: v_dual_sub_f32 v75, v55, v43
	s_wait_dscnt 0x0
	v_dual_sub_f32 v74, v37, v47 :: v_dual_add_f32 v41, v46, v36
	v_dual_sub_f32 v50, v36, v54 :: v_dual_sub_f32 v51, v54, v36
	s_delay_alu instid0(VALU_DEP_3) | instskip(SKIP_1) | instid1(VALU_DEP_4)
	v_fma_f32 v70, -0.5, v40, v32
	v_add_f32_e32 v52, v43, v55
	v_fma_f32 v68, -0.5, v41, v32
	v_sub_f32_e32 v40, v46, v42
	v_sub_f32_e32 v41, v42, v46
	;; [unrolled: 1-line block ×3, first 2 shown]
	v_fma_f32 v77, -0.5, v52, v33
	v_fmamk_f32 v69, v75, 0x3f737871, v68
	v_dual_fmamk_f32 v67, v74, 0x3f737871, v70 :: v_dual_add_f32 v76, v40, v50
	v_fmac_f32_e32 v68, 0xbf737871, v75
	s_delay_alu instid0(VALU_DEP_3) | instskip(SKIP_1) | instid1(VALU_DEP_3)
	v_dual_add_f32 v40, v41, v51 :: v_dual_fmac_f32 v69, 0xbf167918, v74
	v_add_f32_e32 v41, v47, v37
	v_dual_fmac_f32 v67, 0x3f167918, v75 :: v_dual_fmac_f32 v68, 0x3f167918, v74
	v_sub_f32_e32 v78, v36, v46
	v_sub_f32_e32 v50, v37, v55
	s_delay_alu instid0(VALU_DEP_4) | instskip(NEXT) | instid1(VALU_DEP_4)
	v_fma_f32 v72, -0.5, v41, v33
	v_fmac_f32_e32 v67, 0x3e9e377a, v76
	v_dual_sub_f32 v51, v47, v43 :: v_dual_fmac_f32 v68, 0x3e9e377a, v40
	v_fmamk_f32 v71, v78, 0xbf737871, v77
	v_dual_fmac_f32 v69, 0x3e9e377a, v40 :: v_dual_sub_f32 v40, v55, v37
	v_sub_f32_e32 v41, v43, v47
	v_fmamk_f32 v73, v79, 0xbf737871, v72
	v_fmac_f32_e32 v72, 0x3f737871, v79
	v_dual_add_f32 v80, v51, v50 :: v_dual_fmac_f32 v71, 0xbf167918, v79
	v_add_f32_e32 v50, v56, v44
	v_sub_f32_e32 v84, v57, v45
	s_delay_alu instid0(VALU_DEP_4)
	v_fmac_f32_e32 v72, 0xbf167918, v78
	v_add_f32_e32 v40, v41, v40
	v_add_f32_e32 v41, v38, v48
	v_fmac_f32_e32 v71, 0x3e9e377a, v80
	v_fmac_f32_e32 v73, 0x3f167918, v78
	v_fma_f32 v81, -0.5, v50, v34
	v_dual_sub_f32 v50, v38, v56 :: v_dual_sub_f32 v87, v39, v49
	v_fmac_f32_e32 v72, 0x3e9e377a, v40
	v_sub_f32_e32 v51, v48, v44
	v_fma_f32 v41, -0.5, v41, v34
	v_dual_fmac_f32 v73, 0x3e9e377a, v40 :: v_dual_sub_f32 v52, v56, v38
	s_delay_alu instid0(VALU_DEP_3) | instskip(NEXT) | instid1(VALU_DEP_3)
	v_dual_fmamk_f32 v40, v87, 0x3f737871, v81 :: v_dual_add_f32 v83, v50, v51
	v_dual_fmamk_f32 v50, v84, 0x3f737871, v41 :: v_dual_add_f32 v51, v39, v49
	v_sub_f32_e32 v53, v44, v48
	s_delay_alu instid0(VALU_DEP_3) | instskip(SKIP_1) | instid1(VALU_DEP_4)
	v_fmac_f32_e32 v40, 0x3f167918, v84
	v_dual_sub_f32 v91, v56, v44 :: v_dual_sub_f32 v82, v57, v39
	v_fma_f32 v51, -0.5, v51, v35
	v_fmac_f32_e32 v50, 0xbf167918, v87
	v_dual_add_f32 v52, v52, v53 :: v_dual_sub_f32 v93, v38, v48
	s_delay_alu instid0(VALU_DEP_3) | instskip(SKIP_2) | instid1(VALU_DEP_3)
	v_dual_add_f32 v53, v57, v45 :: v_dual_fmamk_f32 v88, v91, 0xbf737871, v51
	v_dual_sub_f32 v86, v49, v45 :: v_dual_fmac_f32 v51, 0x3f737871, v91
	v_fmac_f32_e32 v40, 0x3e9e377a, v83
	v_fma_f32 v92, -0.5, v53, v35
	v_sub_f32_e32 v53, v39, v57
	global_wb scope:SCOPE_SE
	v_fmac_f32_e32 v51, 0xbf167918, v93
	s_barrier_signal -1
	v_fmamk_f32 v90, v93, 0xbf737871, v92
	v_sub_f32_e32 v85, v45, v49
	v_add_f32_e32 v94, v53, v86
	s_barrier_wait -1
	global_inv scope:SCOPE_SE
	v_dual_fmac_f32 v90, 0xbf167918, v91 :: v_dual_add_f32 v85, v82, v85
	s_delay_alu instid0(VALU_DEP_1) | instskip(NEXT) | instid1(VALU_DEP_1)
	v_dual_fmac_f32 v50, 0x3e9e377a, v52 :: v_dual_fmac_f32 v51, 0x3e9e377a, v85
	v_dual_fmac_f32 v41, 0xbf737871, v84 :: v_dual_mul_f32 v86, 0xbf737871, v51
	s_delay_alu instid0(VALU_DEP_1) | instskip(NEXT) | instid1(VALU_DEP_1)
	v_dual_fmac_f32 v88, 0x3f167918, v93 :: v_dual_fmac_f32 v41, 0x3f167918, v87
	v_dual_fmac_f32 v88, 0x3e9e377a, v85 :: v_dual_fmac_f32 v41, 0x3e9e377a, v52
	s_delay_alu instid0(VALU_DEP_1) | instskip(NEXT) | instid1(VALU_DEP_1)
	v_dual_mul_f32 v89, 0xbe9e377a, v51 :: v_dual_fmac_f32 v86, 0xbe9e377a, v41
	v_fmac_f32_e32 v89, 0x3f737871, v41
	s_delay_alu instid0(VALU_DEP_3) | instskip(NEXT) | instid1(VALU_DEP_2)
	v_mul_f32_e32 v82, 0xbf737871, v88
	v_dual_mul_f32 v88, 0x3e9e377a, v88 :: v_dual_sub_f32 v51, v72, v89
	s_delay_alu instid0(VALU_DEP_2) | instskip(NEXT) | instid1(VALU_DEP_2)
	v_fmac_f32_e32 v82, 0x3e9e377a, v50
	v_fmac_f32_e32 v88, 0x3f737871, v50
	;; [unrolled: 1-line block ×3, first 2 shown]
	s_delay_alu instid0(VALU_DEP_2) | instskip(NEXT) | instid1(VALU_DEP_2)
	v_dual_sub_f32 v50, v68, v86 :: v_dual_sub_f32 v41, v73, v88
	v_mul_f32_e32 v85, 0xbf167918, v90
	v_mul_f32_e32 v90, 0xbf4f1bbd, v90
	s_delay_alu instid0(VALU_DEP_1) | instskip(NEXT) | instid1(VALU_DEP_1)
	v_fmac_f32_e32 v90, 0x3f167918, v40
	v_sub_f32_e32 v53, v71, v90
	s_delay_alu instid0(VALU_DEP_4) | instskip(NEXT) | instid1(VALU_DEP_1)
	v_dual_fmac_f32 v85, 0xbf4f1bbd, v40 :: v_dual_sub_f32 v40, v69, v82
	v_sub_f32_e32 v52, v67, v85
	s_and_saveexec_b32 s1, vcc_lo
	s_cbranch_execz .LBB0_17
; %bb.16:
	v_dual_mul_f32 v74, 0x3f737871, v74 :: v_dual_mul_f32 v93, 0x3f737871, v93
	v_dual_mul_f32 v78, 0x3f737871, v78 :: v_dual_mul_f32 v87, 0x3f737871, v87
	v_mul_f32_e32 v75, 0x3f167918, v75
	v_dual_mul_f32 v79, 0x3f167918, v79 :: v_dual_mul_f32 v84, 0x3f167918, v84
	s_delay_alu instid0(VALU_DEP_3) | instskip(SKIP_3) | instid1(VALU_DEP_4)
	v_dual_mul_f32 v80, 0x3e9e377a, v80 :: v_dual_add_f32 v77, v78, v77
	v_add_f32_e32 v92, v93, v92
	v_dual_sub_f32 v78, v81, v87 :: v_dual_mul_f32 v81, 0x3e9e377a, v94
	v_mul_f32_e32 v91, 0x3f167918, v91
	v_dual_add_f32 v77, v79, v77 :: v_dual_add_f32 v32, v36, v32
	s_delay_alu instid0(VALU_DEP_3) | instskip(SKIP_1) | instid1(VALU_DEP_4)
	v_dual_sub_f32 v78, v78, v84 :: v_dual_mul_f32 v83, 0x3e9e377a, v83
	v_mul_f32_e32 v76, 0x3e9e377a, v76
	v_add_f32_e32 v87, v91, v92
	s_delay_alu instid0(VALU_DEP_4) | instskip(SKIP_1) | instid1(VALU_DEP_3)
	v_dual_add_f32 v33, v37, v33 :: v_dual_add_f32 v32, v54, v32
	v_dual_add_f32 v37, v80, v77 :: v_dual_sub_f32 v36, v70, v74
	v_dual_add_f32 v79, v81, v87 :: v_dual_add_f32 v34, v38, v34
	s_delay_alu instid0(VALU_DEP_3) | instskip(NEXT) | instid1(VALU_DEP_2)
	v_dual_add_f32 v77, v83, v78 :: v_dual_add_f32 v32, v42, v32
	v_dual_add_f32 v33, v55, v33 :: v_dual_mul_f32 v78, 0x3f4f1bbd, v79
	s_delay_alu instid0(VALU_DEP_3) | instskip(NEXT) | instid1(VALU_DEP_2)
	v_dual_add_f32 v34, v56, v34 :: v_dual_add_f32 v35, v39, v35
	v_dual_add_f32 v32, v46, v32 :: v_dual_add_f32 v33, v43, v33
	s_delay_alu instid0(VALU_DEP_3) | instskip(NEXT) | instid1(VALU_DEP_2)
	v_dual_fmac_f32 v78, 0x3f167918, v77 :: v_dual_add_f32 v43, v73, v88
	v_dual_add_f32 v35, v57, v35 :: v_dual_add_f32 v38, v47, v33
	s_delay_alu instid0(VALU_DEP_4) | instskip(NEXT) | instid1(VALU_DEP_3)
	v_add_f32_e32 v33, v44, v34
	v_dual_sub_f32 v34, v36, v75 :: v_dual_sub_f32 v39, v37, v78
	s_delay_alu instid0(VALU_DEP_3) | instskip(SKIP_1) | instid1(VALU_DEP_3)
	v_add_f32_e32 v35, v45, v35
	v_mul_f32_e32 v36, 0x3f167918, v79
	v_add_f32_e32 v54, v76, v34
	s_delay_alu instid0(VALU_DEP_3) | instskip(SKIP_1) | instid1(VALU_DEP_4)
	v_add_f32_e32 v42, v49, v35
	v_add_f32_e32 v46, v48, v33
	v_fma_f32 v36, 0x3f4f1bbd, v77, -v36
	v_add_f32_e32 v49, v37, v78
	v_and_b32_e32 v37, 0xffff, v65
	v_sub_f32_e32 v35, v38, v42
	v_sub_f32_e32 v34, v32, v46
	v_dual_add_f32 v33, v71, v90 :: v_dual_add_f32 v48, v54, v36
	v_dual_add_f32 v45, v72, v89 :: v_dual_add_f32 v46, v46, v32
	v_add_f32_e32 v47, v42, v38
	v_dual_add_f32 v44, v68, v86 :: v_dual_lshlrev_b32 v37, 3, v37
	v_add_f32_e32 v42, v69, v82
	v_add_f32_e32 v32, v67, v85
	v_sub_f32_e32 v38, v54, v36
	ds_store_b128 v37, v[46:49]
	ds_store_b128 v37, v[42:45] offset:16
	ds_store_b128 v37, v[32:35] offset:32
	;; [unrolled: 1-line block ×4, first 2 shown]
.LBB0_17:
	s_wait_alu 0xfffe
	s_or_b32 exec_lo, exec_lo, s1
	global_wb scope:SCOPE_SE
	s_wait_dscnt 0x0
	s_barrier_signal -1
	s_barrier_wait -1
	global_inv scope:SCOPE_SE
	ds_load_2addr_b64 v[34:37], v64 offset1:60
	ds_load_2addr_b64 v[42:45], v64 offset0:120 offset1:180
	ds_load_b64 v[38:39], v64 offset:2880
	s_wait_dscnt 0x2
	v_dual_mul_f32 v32, v17, v37 :: v_dual_add_nc_u32 v33, 0x400, v64
	ds_load_2addr_b64 v[46:49], v33 offset0:112 offset1:172
	s_wait_dscnt 0x2
	v_dual_mul_f32 v17, v17, v36 :: v_dual_mul_f32 v54, v19, v43
	v_dual_mul_f32 v19, v19, v42 :: v_dual_fmac_f32 v32, v16, v36
	s_wait_dscnt 0x1
	v_dual_mul_f32 v55, v5, v45 :: v_dual_mul_f32 v56, v3, v39
	v_mul_f32_e32 v3, v3, v38
	v_dual_mul_f32 v5, v5, v44 :: v_dual_fmac_f32 v54, v18, v42
	v_fma_f32 v16, v16, v37, -v17
	v_fma_f32 v17, v18, v43, -v19
	v_dual_fmac_f32 v55, v4, v44 :: v_dual_fmac_f32 v56, v2, v38
	s_delay_alu instid0(VALU_DEP_4)
	v_fma_f32 v4, v4, v45, -v5
	global_wb scope:SCOPE_SE
	s_wait_dscnt 0x0
	s_barrier_signal -1
	s_barrier_wait -1
	global_inv scope:SCOPE_SE
	v_mul_f32_e32 v18, v1, v49
	v_fma_f32 v2, v2, v39, -v3
	v_mul_f32_e32 v1, v1, v48
	s_delay_alu instid0(VALU_DEP_3) | instskip(NEXT) | instid1(VALU_DEP_2)
	v_dual_mul_f32 v5, v7, v47 :: v_dual_fmac_f32 v18, v0, v48
	v_fma_f32 v0, v0, v49, -v1
	v_mul_f32_e32 v7, v7, v46
	v_add_f32_e32 v1, v32, v56
	s_delay_alu instid0(VALU_DEP_3) | instskip(SKIP_1) | instid1(VALU_DEP_4)
	v_add_f32_e32 v19, v17, v0
	v_sub_f32_e32 v0, v17, v0
	v_fma_f32 v3, v6, v47, -v7
	v_fmac_f32_e32 v5, v6, v46
	v_add_f32_e32 v6, v16, v2
	v_sub_f32_e32 v7, v32, v56
	s_delay_alu instid0(VALU_DEP_4) | instskip(NEXT) | instid1(VALU_DEP_4)
	v_add_f32_e32 v32, v4, v3
	v_dual_sub_f32 v2, v16, v2 :: v_dual_add_f32 v17, v55, v5
	v_add_f32_e32 v16, v54, v18
	v_dual_sub_f32 v18, v54, v18 :: v_dual_sub_f32 v3, v3, v4
	s_delay_alu instid0(VALU_DEP_3) | instskip(NEXT) | instid1(VALU_DEP_3)
	v_sub_f32_e32 v39, v1, v17
	v_dual_add_f32 v4, v16, v1 :: v_dual_sub_f32 v5, v5, v55
	v_dual_add_f32 v36, v19, v6 :: v_dual_sub_f32 v37, v16, v1
	v_sub_f32_e32 v38, v19, v6
	v_dual_sub_f32 v16, v17, v16 :: v_dual_sub_f32 v19, v32, v19
	s_delay_alu instid0(VALU_DEP_4)
	v_add_f32_e32 v1, v5, v18
	v_sub_f32_e32 v43, v5, v18
	v_dual_sub_f32 v5, v7, v5 :: v_dual_add_f32 v4, v17, v4
	v_sub_f32_e32 v18, v18, v7
	v_add_f32_e32 v42, v3, v0
	v_add_f32_e32 v17, v32, v36
	v_sub_f32_e32 v6, v6, v32
	v_dual_sub_f32 v44, v3, v0 :: v_dual_sub_f32 v3, v2, v3
	v_dual_sub_f32 v32, v0, v2 :: v_dual_add_f32 v7, v1, v7
	v_add_f32_e32 v0, v34, v4
	v_dual_add_f32 v2, v42, v2 :: v_dual_add_f32 v1, v35, v17
	v_mul_f32_e32 v34, 0x3f4a47b2, v39
	v_dual_mul_f32 v35, 0x3d64c772, v16 :: v_dual_mul_f32 v36, 0x3d64c772, v19
	v_dual_mul_f32 v39, 0x3f08b237, v43 :: v_dual_mul_f32 v42, 0x3f08b237, v44
	;; [unrolled: 1-line block ×3, first 2 shown]
	v_dual_fmamk_f32 v4, v4, 0xbf955555, v0 :: v_dual_fmamk_f32 v17, v17, 0xbf955555, v1
	v_fmamk_f32 v16, v16, 0x3d64c772, v34
	v_mul_f32_e32 v6, 0x3f4a47b2, v6
	v_fma_f32 v35, 0x3f3bfb3b, v37, -v35
	v_fma_f32 v34, 0xbf3bfb3b, v37, -v34
	v_fmamk_f32 v37, v5, 0xbeae86e6, v39
	v_fma_f32 v18, 0xbf5ff5aa, v18, -v39
	v_fma_f32 v39, 0x3eae86e6, v5, -v43
	v_add_f32_e32 v43, v16, v4
	v_dual_fmamk_f32 v19, v19, 0x3d64c772, v6 :: v_dual_add_f32 v34, v34, v4
	v_fma_f32 v36, 0x3f3bfb3b, v38, -v36
	v_fma_f32 v6, 0xbf3bfb3b, v38, -v6
	v_fmamk_f32 v38, v3, 0xbeae86e6, v42
	v_fma_f32 v32, 0xbf5ff5aa, v32, -v42
	v_fma_f32 v42, 0x3eae86e6, v3, -v44
	v_dual_add_f32 v44, v19, v17 :: v_dual_fmac_f32 v37, 0xbee1c552, v7
	s_delay_alu instid0(VALU_DEP_4) | instskip(SKIP_2) | instid1(VALU_DEP_4)
	v_dual_fmac_f32 v38, 0xbee1c552, v2 :: v_dual_fmac_f32 v39, 0xbee1c552, v7
	v_dual_add_f32 v16, v35, v4 :: v_dual_add_f32 v19, v36, v17
	v_dual_add_f32 v35, v6, v17 :: v_dual_fmac_f32 v18, 0xbee1c552, v7
	v_dual_sub_f32 v3, v44, v37 :: v_dual_fmac_f32 v42, 0xbee1c552, v2
	v_fmac_f32_e32 v32, 0xbee1c552, v2
	s_delay_alu instid0(VALU_DEP_3) | instskip(NEXT) | instid1(VALU_DEP_3)
	v_dual_add_f32 v2, v38, v43 :: v_dual_sub_f32 v17, v19, v18
	v_dual_sub_f32 v5, v35, v39 :: v_dual_add_f32 v4, v42, v34
	v_add_f32_e32 v7, v18, v19
	s_delay_alu instid0(VALU_DEP_4)
	v_dual_add_f32 v19, v39, v35 :: v_dual_sub_f32 v6, v16, v32
	v_add_f32_e32 v16, v32, v16
	v_dual_sub_f32 v18, v34, v42 :: v_dual_add_f32 v39, v37, v44
	v_add_nc_u32_e32 v32, 0x800, v64
	v_sub_f32_e32 v38, v43, v38
	ds_store_2addr_b64 v66, v[0:1], v[2:3] offset1:10
	ds_store_2addr_b64 v66, v[4:5], v[6:7] offset0:20 offset1:30
	ds_store_2addr_b64 v66, v[16:17], v[18:19] offset0:40 offset1:50
	ds_store_b64 v66, v[38:39] offset:480
	global_wb scope:SCOPE_SE
	s_wait_dscnt 0x0
	s_barrier_signal -1
	s_barrier_wait -1
	global_inv scope:SCOPE_SE
	ds_load_2addr_b64 v[0:3], v64 offset1:70
	ds_load_2addr_b64 v[16:19], v64 offset0:140 offset1:210
	ds_load_2addr_b64 v[4:7], v32 offset0:24 offset1:94
	s_and_saveexec_b32 s1, s0
	s_cbranch_execz .LBB0_19
; %bb.18:
	ds_load_2addr_b64 v[38:41], v64 offset0:60 offset1:130
	ds_load_2addr_b64 v[50:53], v33 offset0:72 offset1:142
	;; [unrolled: 1-line block ×3, first 2 shown]
.LBB0_19:
	s_wait_alu 0xfffe
	s_or_b32 exec_lo, exec_lo, s1
	s_wait_dscnt 0x1
	v_dual_mul_f32 v33, v25, v3 :: v_dual_mul_f32 v34, v27, v17
	v_mul_f32_e32 v25, v25, v2
	v_mul_f32_e32 v27, v27, v16
	s_delay_alu instid0(VALU_DEP_3) | instskip(SKIP_4) | instid1(VALU_DEP_3)
	v_dual_fmac_f32 v33, v24, v2 :: v_dual_fmac_f32 v34, v26, v16
	s_wait_dscnt 0x0
	v_mul_f32_e32 v16, v23, v5
	v_fma_f32 v2, v24, v3, -v25
	v_mul_f32_e32 v3, v21, v19
	v_dual_mul_f32 v21, v21, v18 :: v_dual_fmac_f32 v16, v22, v4
	s_delay_alu instid0(VALU_DEP_2) | instskip(SKIP_2) | instid1(VALU_DEP_4)
	v_dual_fmac_f32 v3, v20, v18 :: v_dual_mul_f32 v18, v23, v4
	v_mul_f32_e32 v4, v62, v7
	v_fma_f32 v17, v26, v17, -v27
	v_fma_f32 v19, v20, v19, -v21
	v_mul_f32_e32 v20, v62, v6
	v_fma_f32 v5, v22, v5, -v18
	v_add_f32_e32 v18, v34, v16
	v_fmac_f32_e32 v4, v61, v6
	v_add_f32_e32 v6, v0, v34
	v_fma_f32 v7, v61, v7, -v20
	v_add_f32_e32 v20, v17, v5
	v_fma_f32 v18, -0.5, v18, v0
	v_sub_f32_e32 v0, v17, v5
	v_dual_add_f32 v17, v1, v17 :: v_dual_add_f32 v22, v2, v19
	s_delay_alu instid0(VALU_DEP_4) | instskip(SKIP_1) | instid1(VALU_DEP_3)
	v_fma_f32 v20, -0.5, v20, v1
	v_sub_f32_e32 v1, v34, v16
	v_dual_add_f32 v17, v17, v5 :: v_dual_add_f32 v6, v6, v16
	v_dual_fmamk_f32 v16, v0, 0xbf5db3d7, v18 :: v_dual_add_f32 v5, v3, v4
	v_fmac_f32_e32 v18, 0x3f5db3d7, v0
	s_delay_alu instid0(VALU_DEP_4) | instskip(NEXT) | instid1(VALU_DEP_1)
	v_dual_add_f32 v0, v19, v7 :: v_dual_fmamk_f32 v21, v1, 0x3f5db3d7, v20
	v_fmac_f32_e32 v2, -0.5, v0
	v_dual_sub_f32 v0, v3, v4 :: v_dual_add_f32 v3, v33, v3
	v_fmac_f32_e32 v33, -0.5, v5
	v_dual_sub_f32 v5, v19, v7 :: v_dual_fmac_f32 v20, 0xbf5db3d7, v1
	s_delay_alu instid0(VALU_DEP_3) | instskip(NEXT) | instid1(VALU_DEP_2)
	v_add_f32_e32 v19, v3, v4
	v_fmamk_f32 v3, v5, 0xbf5db3d7, v33
	v_fmac_f32_e32 v33, 0x3f5db3d7, v5
	v_fmamk_f32 v1, v0, 0x3f5db3d7, v2
	v_add_f32_e32 v7, v22, v7
	s_delay_alu instid0(VALU_DEP_2) | instskip(NEXT) | instid1(VALU_DEP_2)
	v_dual_mul_f32 v23, 0xbf5db3d7, v1 :: v_dual_fmac_f32 v2, 0xbf5db3d7, v0
	v_dual_mul_f32 v22, 0.5, v1 :: v_dual_add_f32 v1, v17, v7
	v_sub_f32_e32 v7, v17, v7
	s_delay_alu instid0(VALU_DEP_3) | instskip(NEXT) | instid1(VALU_DEP_4)
	v_fmac_f32_e32 v23, 0.5, v3
	v_mul_f32_e32 v25, -0.5, v2
	v_mul_f32_e32 v24, 0xbf5db3d7, v2
	s_delay_alu instid0(VALU_DEP_2) | instskip(SKIP_1) | instid1(VALU_DEP_3)
	v_dual_add_f32 v0, v6, v19 :: v_dual_fmac_f32 v25, 0x3f5db3d7, v33
	v_fmac_f32_e32 v22, 0x3f5db3d7, v3
	v_fmac_f32_e32 v24, -0.5, v33
	s_delay_alu instid0(VALU_DEP_3) | instskip(NEXT) | instid1(VALU_DEP_3)
	v_add_f32_e32 v5, v20, v25
	v_dual_add_f32 v2, v16, v23 :: v_dual_add_f32 v3, v21, v22
	s_delay_alu instid0(VALU_DEP_3)
	v_add_f32_e32 v4, v18, v24
	v_dual_sub_f32 v6, v6, v19 :: v_dual_sub_f32 v17, v21, v22
	v_sub_f32_e32 v16, v16, v23
	v_dual_sub_f32 v18, v18, v24 :: v_dual_sub_f32 v19, v20, v25
	ds_store_2addr_b64 v64, v[0:1], v[2:3] offset1:70
	ds_store_2addr_b64 v64, v[4:5], v[6:7] offset0:140 offset1:210
	ds_store_2addr_b64 v32, v[16:17], v[18:19] offset0:24 offset1:94
	s_and_saveexec_b32 s1, s0
	s_cbranch_execz .LBB0_21
; %bb.20:
	v_dual_mul_f32 v0, v15, v50 :: v_dual_mul_f32 v3, v9, v52
	v_dual_mul_f32 v1, v11, v28 :: v_dual_mul_f32 v2, v9, v53
	v_mul_f32_e32 v6, v13, v40
	s_delay_alu instid0(VALU_DEP_3) | instskip(NEXT) | instid1(VALU_DEP_4)
	v_fma_f32 v0, v14, v51, -v0
	v_fma_f32 v3, v8, v53, -v3
	s_delay_alu instid0(VALU_DEP_4)
	v_fma_f32 v4, v10, v29, -v1
	v_mul_f32_e32 v1, v60, v30
	v_dual_mul_f32 v13, v13, v41 :: v_dual_fmac_f32 v2, v8, v52
	v_mul_f32_e32 v8, v15, v51
	v_mul_f32_e32 v5, v60, v31
	v_add_f32_e32 v7, v0, v4
	v_fma_f32 v9, v59, v31, -v1
	v_fma_f32 v6, v12, v41, -v6
	v_fmac_f32_e32 v8, v14, v50
	v_fmac_f32_e32 v5, v59, v30
	v_fma_f32 v16, -0.5, v7, v39
	v_add_f32_e32 v1, v3, v9
	v_fmac_f32_e32 v13, v12, v40
	v_add_f32_e32 v20, v39, v0
	v_add_f32_e32 v12, v2, v5
	v_sub_f32_e32 v0, v0, v4
	v_fma_f32 v15, -0.5, v1, v6
	v_sub_f32_e32 v1, v2, v5
	s_delay_alu instid0(VALU_DEP_1) | instskip(NEXT) | instid1(VALU_DEP_1)
	v_dual_mul_f32 v11, v11, v29 :: v_dual_fmamk_f32 v14, v1, 0xbf5db3d7, v15
	v_fmac_f32_e32 v11, v10, v28
	v_fma_f32 v10, -0.5, v12, v13
	v_dual_sub_f32 v12, v3, v9 :: v_dual_add_f32 v3, v6, v3
	s_delay_alu instid0(VALU_DEP_4) | instskip(NEXT) | instid1(VALU_DEP_4)
	v_mul_f32_e32 v18, -0.5, v14
	v_dual_mul_f32 v14, 0xbf5db3d7, v14 :: v_dual_sub_f32 v7, v8, v11
	s_delay_alu instid0(VALU_DEP_3) | instskip(SKIP_1) | instid1(VALU_DEP_3)
	v_fmamk_f32 v17, v12, 0x3f5db3d7, v10
	v_fmac_f32_e32 v10, 0xbf5db3d7, v12
	v_dual_add_f32 v6, v20, v4 :: v_dual_fmamk_f32 v19, v7, 0xbf5db3d7, v16
	v_dual_fmac_f32 v16, 0x3f5db3d7, v7 :: v_dual_fmac_f32 v15, 0x3f5db3d7, v1
	v_dual_add_f32 v20, v3, v9 :: v_dual_add_f32 v3, v38, v8
	s_delay_alu instid0(VALU_DEP_2) | instskip(SKIP_3) | instid1(VALU_DEP_4)
	v_mul_f32_e32 v12, 0.5, v15
	v_mul_f32_e32 v15, 0xbf5db3d7, v15
	v_dual_add_f32 v7, v8, v11 :: v_dual_fmac_f32 v18, 0x3f5db3d7, v17
	v_fmac_f32_e32 v14, -0.5, v17
	v_fmac_f32_e32 v12, 0x3f5db3d7, v10
	s_delay_alu instid0(VALU_DEP_4) | instskip(NEXT) | instid1(VALU_DEP_4)
	v_fmac_f32_e32 v15, 0.5, v10
	v_fma_f32 v21, -0.5, v7, v38
	v_sub_f32_e32 v1, v19, v18
	v_add_f32_e32 v2, v13, v2
	s_delay_alu instid0(VALU_DEP_3) | instskip(SKIP_1) | instid1(VALU_DEP_3)
	v_dual_add_f32 v7, v19, v18 :: v_dual_fmamk_f32 v22, v0, 0x3f5db3d7, v21
	v_dual_fmac_f32 v21, 0xbf5db3d7, v0 :: v_dual_add_f32 v10, v3, v11
	v_add_f32_e32 v13, v2, v5
	v_add_f32_e32 v9, v16, v12
	s_delay_alu instid0(VALU_DEP_3) | instskip(SKIP_1) | instid1(VALU_DEP_4)
	v_dual_add_f32 v11, v6, v20 :: v_dual_add_f32 v8, v21, v15
	v_dual_sub_f32 v3, v16, v12 :: v_dual_sub_f32 v0, v22, v14
	v_sub_f32_e32 v4, v10, v13
	v_dual_add_f32 v10, v10, v13 :: v_dual_add_nc_u32 v13, 0x800, v64
	v_dual_sub_f32 v5, v6, v20 :: v_dual_sub_f32 v2, v21, v15
	v_add_f32_e32 v6, v22, v14
	v_add_nc_u32_e32 v12, 0x400, v64
	ds_store_2addr_b64 v64, v[10:11], v[8:9] offset0:60 offset1:130
	ds_store_2addr_b64 v12, v[6:7], v[4:5] offset0:72 offset1:142
	;; [unrolled: 1-line block ×3, first 2 shown]
.LBB0_21:
	s_wait_alu 0xfffe
	s_or_b32 exec_lo, exec_lo, s1
	global_wb scope:SCOPE_SE
	s_wait_dscnt 0x0
	s_barrier_signal -1
	s_barrier_wait -1
	global_inv scope:SCOPE_SE
	s_and_b32 exec_lo, exec_lo, vcc_lo
	s_cbranch_execz .LBB0_23
; %bb.22:
	s_clause 0x9
	global_load_b64 v[20:21], v64, s[10:11]
	global_load_b64 v[22:23], v64, s[10:11] offset:336
	global_load_b64 v[24:25], v64, s[10:11] offset:672
	;; [unrolled: 1-line block ×9, first 2 shown]
	ds_load_2addr_b64 v[0:3], v64 offset1:210
	ds_load_2addr_b64 v[4:7], v64 offset0:42 offset1:84
	v_mad_co_u64_u32 v[40:41], null, s6, v58, 0
	v_mad_co_u64_u32 v[42:43], null, s4, v63, 0
	v_add_nc_u32_e32 v12, 0x400, v64
	v_add_nc_u32_e32 v16, 0x800, v64
	ds_load_2addr_b64 v[8:11], v64 offset0:126 offset1:168
	s_mov_b32 s0, 0x13813814
	s_mov_b32 s1, 0x3f638138
	v_mad_co_u64_u32 v[44:45], null, s7, v58, v[41:42]
	s_wait_loadcnt_dscnt 0x902
	v_mul_f32_e32 v41, v1, v21
	v_mul_f32_e32 v21, v0, v21
	ds_load_2addr_b64 v[12:15], v12 offset0:124 offset1:166
	ds_load_2addr_b64 v[16:19], v16 offset0:80 offset1:122
	s_wait_loadcnt_dscnt 0x703
	v_dual_mul_f32 v45, v5, v23 :: v_dual_mul_f32 v46, v7, v25
	s_wait_loadcnt_dscnt 0x502
	v_dual_mul_f32 v23, v4, v23 :: v_dual_mul_f32 v48, v11, v29
	v_mul_f32_e32 v47, v9, v27
	v_mul_f32_e32 v27, v8, v27
	s_wait_loadcnt 0x4
	v_mul_f32_e32 v49, v3, v31
	v_mul_f32_e32 v31, v2, v31
	v_fmac_f32_e32 v41, v0, v20
	v_fma_f32 v20, v20, v1, -v21
	v_fmac_f32_e32 v45, v4, v22
	v_fma_f32 v21, v22, v5, -v23
	v_dual_fmac_f32 v46, v6, v24 :: v_dual_fmac_f32 v47, v8, v26
	v_cvt_f64_f32_e32 v[0:1], v41
	s_delay_alu instid0(VALU_DEP_4)
	v_cvt_f64_f32_e32 v[4:5], v45
	v_dual_fmac_f32 v48, v10, v28 :: v_dual_mov_b32 v41, v44
	s_wait_loadcnt_dscnt 0x301
	v_mul_f32_e32 v50, v13, v33
	s_wait_loadcnt_dscnt 0x100
	v_mul_f32_e32 v52, v17, v37
	v_mul_f32_e32 v25, v6, v25
	;; [unrolled: 1-line block ×5, first 2 shown]
	v_dual_mul_f32 v35, v14, v35 :: v_dual_fmac_f32 v50, v12, v32
	v_fma_f32 v22, v24, v7, -v25
	v_mul_f32_e32 v37, v16, v37
	v_fma_f32 v23, v26, v9, -v27
	s_wait_loadcnt 0x0
	v_mul_f32_e32 v53, v19, v39
	v_dual_mul_f32 v39, v18, v39 :: v_dual_fmac_f32 v52, v16, v36
	v_fma_f32 v24, v28, v11, -v29
	v_fmac_f32_e32 v49, v2, v30
	v_fma_f32 v25, v30, v3, -v31
	v_cvt_f64_f32_e32 v[2:3], v20
	v_fma_f32 v26, v32, v13, -v33
	v_cvt_f64_f32_e32 v[6:7], v21
	v_fmac_f32_e32 v51, v14, v34
	v_fma_f32 v30, v34, v15, -v35
	v_cvt_f64_f32_e32 v[8:9], v46
	v_cvt_f64_f32_e32 v[10:11], v22
	v_fma_f32 v34, v36, v17, -v37
	v_cvt_f64_f32_e32 v[12:13], v47
	v_cvt_f64_f32_e32 v[14:15], v23
	v_fmac_f32_e32 v53, v18, v38
	v_fma_f32 v38, v38, v19, -v39
	v_cvt_f64_f32_e32 v[16:17], v48
	v_cvt_f64_f32_e32 v[18:19], v24
	;; [unrolled: 1-line block ×12, first 2 shown]
	s_wait_alu 0xfffe
	v_mul_f64_e32 v[0:1], s[0:1], v[0:1]
	v_mul_f64_e32 v[4:5], s[0:1], v[4:5]
	v_mad_co_u64_u32 v[45:46], null, s5, v63, v[43:44]
	v_lshlrev_b64_e32 v[40:41], 3, v[40:41]
	s_delay_alu instid0(VALU_DEP_2) | instskip(NEXT) | instid1(VALU_DEP_2)
	v_mov_b32_e32 v43, v45
	v_add_co_u32 v40, vcc_lo, s8, v40
	s_delay_alu instid0(VALU_DEP_3)
	v_add_co_ci_u32_e32 v41, vcc_lo, s9, v41, vcc_lo
	v_mul_f64_e32 v[2:3], s[0:1], v[2:3]
	v_mul_f64_e32 v[6:7], s[0:1], v[6:7]
	v_lshlrev_b64_e32 v[42:43], 3, v[42:43]
	v_mul_f64_e32 v[8:9], s[0:1], v[8:9]
	v_mul_f64_e32 v[10:11], s[0:1], v[10:11]
	;; [unrolled: 1-line block ×4, first 2 shown]
	v_add_co_u32 v40, vcc_lo, v40, v42
	v_mul_f64_e32 v[16:17], s[0:1], v[16:17]
	v_mul_f64_e32 v[18:19], s[0:1], v[18:19]
	;; [unrolled: 1-line block ×12, first 2 shown]
	s_wait_alu 0xfffd
	v_add_co_ci_u32_e32 v41, vcc_lo, v41, v43, vcc_lo
	s_mul_u64 s[0:1], s[4:5], 0x150
	v_cvt_f32_f64_e32 v0, v[0:1]
	s_wait_alu 0xfffe
	v_add_co_u32 v42, vcc_lo, v40, s0
	s_wait_alu 0xfffd
	v_add_co_ci_u32_e32 v43, vcc_lo, s1, v41, vcc_lo
	s_delay_alu instid0(VALU_DEP_2) | instskip(SKIP_1) | instid1(VALU_DEP_2)
	v_add_co_u32 v44, vcc_lo, v42, s0
	s_wait_alu 0xfffd
	v_add_co_ci_u32_e32 v45, vcc_lo, s1, v43, vcc_lo
	s_delay_alu instid0(VALU_DEP_2)
	v_add_co_u32 v46, vcc_lo, v44, s0
	v_cvt_f32_f64_e32 v1, v[2:3]
	v_cvt_f32_f64_e32 v2, v[4:5]
	;; [unrolled: 1-line block ×5, first 2 shown]
	s_wait_alu 0xfffd
	v_add_co_ci_u32_e32 v47, vcc_lo, s1, v45, vcc_lo
	v_cvt_f32_f64_e32 v6, v[12:13]
	v_cvt_f32_f64_e32 v7, v[14:15]
	;; [unrolled: 1-line block ×14, first 2 shown]
	v_add_co_u32 v20, vcc_lo, v46, s0
	s_wait_alu 0xfffd
	v_add_co_ci_u32_e32 v21, vcc_lo, s1, v47, vcc_lo
	s_delay_alu instid0(VALU_DEP_2) | instskip(SKIP_1) | instid1(VALU_DEP_2)
	v_add_co_u32 v22, vcc_lo, v20, s0
	s_wait_alu 0xfffd
	v_add_co_ci_u32_e32 v23, vcc_lo, s1, v21, vcc_lo
	s_delay_alu instid0(VALU_DEP_2) | instskip(SKIP_1) | instid1(VALU_DEP_2)
	;; [unrolled: 4-line block ×5, first 2 shown]
	v_add_co_u32 v30, vcc_lo, v28, s0
	s_wait_alu 0xfffd
	v_add_co_ci_u32_e32 v31, vcc_lo, s1, v29, vcc_lo
	s_clause 0x4
	global_store_b64 v[40:41], v[0:1], off
	global_store_b64 v[42:43], v[2:3], off
	;; [unrolled: 1-line block ×10, first 2 shown]
.LBB0_23:
	s_nop 0
	s_sendmsg sendmsg(MSG_DEALLOC_VGPRS)
	s_endpgm
	.section	.rodata,"a",@progbits
	.p2align	6, 0x0
	.amdhsa_kernel bluestein_single_back_len420_dim1_sp_op_CI_CI
		.amdhsa_group_segment_fixed_size 3360
		.amdhsa_private_segment_fixed_size 0
		.amdhsa_kernarg_size 104
		.amdhsa_user_sgpr_count 2
		.amdhsa_user_sgpr_dispatch_ptr 0
		.amdhsa_user_sgpr_queue_ptr 0
		.amdhsa_user_sgpr_kernarg_segment_ptr 1
		.amdhsa_user_sgpr_dispatch_id 0
		.amdhsa_user_sgpr_private_segment_size 0
		.amdhsa_wavefront_size32 1
		.amdhsa_uses_dynamic_stack 0
		.amdhsa_enable_private_segment 0
		.amdhsa_system_sgpr_workgroup_id_x 1
		.amdhsa_system_sgpr_workgroup_id_y 0
		.amdhsa_system_sgpr_workgroup_id_z 0
		.amdhsa_system_sgpr_workgroup_info 0
		.amdhsa_system_vgpr_workitem_id 0
		.amdhsa_next_free_vgpr 95
		.amdhsa_next_free_sgpr 16
		.amdhsa_reserve_vcc 1
		.amdhsa_float_round_mode_32 0
		.amdhsa_float_round_mode_16_64 0
		.amdhsa_float_denorm_mode_32 3
		.amdhsa_float_denorm_mode_16_64 3
		.amdhsa_fp16_overflow 0
		.amdhsa_workgroup_processor_mode 1
		.amdhsa_memory_ordered 1
		.amdhsa_forward_progress 0
		.amdhsa_round_robin_scheduling 0
		.amdhsa_exception_fp_ieee_invalid_op 0
		.amdhsa_exception_fp_denorm_src 0
		.amdhsa_exception_fp_ieee_div_zero 0
		.amdhsa_exception_fp_ieee_overflow 0
		.amdhsa_exception_fp_ieee_underflow 0
		.amdhsa_exception_fp_ieee_inexact 0
		.amdhsa_exception_int_div_zero 0
	.end_amdhsa_kernel
	.text
.Lfunc_end0:
	.size	bluestein_single_back_len420_dim1_sp_op_CI_CI, .Lfunc_end0-bluestein_single_back_len420_dim1_sp_op_CI_CI
                                        ; -- End function
	.section	.AMDGPU.csdata,"",@progbits
; Kernel info:
; codeLenInByte = 8876
; NumSgprs: 18
; NumVgprs: 95
; ScratchSize: 0
; MemoryBound: 0
; FloatMode: 240
; IeeeMode: 1
; LDSByteSize: 3360 bytes/workgroup (compile time only)
; SGPRBlocks: 2
; VGPRBlocks: 11
; NumSGPRsForWavesPerEU: 18
; NumVGPRsForWavesPerEU: 95
; Occupancy: 16
; WaveLimiterHint : 1
; COMPUTE_PGM_RSRC2:SCRATCH_EN: 0
; COMPUTE_PGM_RSRC2:USER_SGPR: 2
; COMPUTE_PGM_RSRC2:TRAP_HANDLER: 0
; COMPUTE_PGM_RSRC2:TGID_X_EN: 1
; COMPUTE_PGM_RSRC2:TGID_Y_EN: 0
; COMPUTE_PGM_RSRC2:TGID_Z_EN: 0
; COMPUTE_PGM_RSRC2:TIDIG_COMP_CNT: 0
	.text
	.p2alignl 7, 3214868480
	.fill 96, 4, 3214868480
	.type	__hip_cuid_1455ff525b74ffdd,@object ; @__hip_cuid_1455ff525b74ffdd
	.section	.bss,"aw",@nobits
	.globl	__hip_cuid_1455ff525b74ffdd
__hip_cuid_1455ff525b74ffdd:
	.byte	0                               ; 0x0
	.size	__hip_cuid_1455ff525b74ffdd, 1

	.ident	"AMD clang version 19.0.0git (https://github.com/RadeonOpenCompute/llvm-project roc-6.4.0 25133 c7fe45cf4b819c5991fe208aaa96edf142730f1d)"
	.section	".note.GNU-stack","",@progbits
	.addrsig
	.addrsig_sym __hip_cuid_1455ff525b74ffdd
	.amdgpu_metadata
---
amdhsa.kernels:
  - .args:
      - .actual_access:  read_only
        .address_space:  global
        .offset:         0
        .size:           8
        .value_kind:     global_buffer
      - .actual_access:  read_only
        .address_space:  global
        .offset:         8
        .size:           8
        .value_kind:     global_buffer
      - .actual_access:  read_only
        .address_space:  global
        .offset:         16
        .size:           8
        .value_kind:     global_buffer
      - .actual_access:  read_only
        .address_space:  global
        .offset:         24
        .size:           8
        .value_kind:     global_buffer
      - .actual_access:  read_only
        .address_space:  global
        .offset:         32
        .size:           8
        .value_kind:     global_buffer
      - .offset:         40
        .size:           8
        .value_kind:     by_value
      - .address_space:  global
        .offset:         48
        .size:           8
        .value_kind:     global_buffer
      - .address_space:  global
        .offset:         56
        .size:           8
        .value_kind:     global_buffer
      - .address_space:  global
        .offset:         64
        .size:           8
        .value_kind:     global_buffer
      - .address_space:  global
        .offset:         72
        .size:           8
        .value_kind:     global_buffer
      - .offset:         80
        .size:           4
        .value_kind:     by_value
      - .address_space:  global
        .offset:         88
        .size:           8
        .value_kind:     global_buffer
      - .address_space:  global
        .offset:         96
        .size:           8
        .value_kind:     global_buffer
    .group_segment_fixed_size: 3360
    .kernarg_segment_align: 8
    .kernarg_segment_size: 104
    .language:       OpenCL C
    .language_version:
      - 2
      - 0
    .max_flat_workgroup_size: 60
    .name:           bluestein_single_back_len420_dim1_sp_op_CI_CI
    .private_segment_fixed_size: 0
    .sgpr_count:     18
    .sgpr_spill_count: 0
    .symbol:         bluestein_single_back_len420_dim1_sp_op_CI_CI.kd
    .uniform_work_group_size: 1
    .uses_dynamic_stack: false
    .vgpr_count:     95
    .vgpr_spill_count: 0
    .wavefront_size: 32
    .workgroup_processor_mode: 1
amdhsa.target:   amdgcn-amd-amdhsa--gfx1201
amdhsa.version:
  - 1
  - 2
...

	.end_amdgpu_metadata
